;; amdgpu-corpus repo=ROCm/rocFFT kind=compiled arch=gfx1201 opt=O3
	.text
	.amdgcn_target "amdgcn-amd-amdhsa--gfx1201"
	.amdhsa_code_object_version 6
	.protected	fft_rtc_back_len1323_factors_3_3_3_7_7_wgs_189_tpt_189_dp_op_CI_CI_unitstride_sbrr_dirReg ; -- Begin function fft_rtc_back_len1323_factors_3_3_3_7_7_wgs_189_tpt_189_dp_op_CI_CI_unitstride_sbrr_dirReg
	.globl	fft_rtc_back_len1323_factors_3_3_3_7_7_wgs_189_tpt_189_dp_op_CI_CI_unitstride_sbrr_dirReg
	.p2align	8
	.type	fft_rtc_back_len1323_factors_3_3_3_7_7_wgs_189_tpt_189_dp_op_CI_CI_unitstride_sbrr_dirReg,@function
fft_rtc_back_len1323_factors_3_3_3_7_7_wgs_189_tpt_189_dp_op_CI_CI_unitstride_sbrr_dirReg: ; @fft_rtc_back_len1323_factors_3_3_3_7_7_wgs_189_tpt_189_dp_op_CI_CI_unitstride_sbrr_dirReg
; %bb.0:
	s_clause 0x2
	s_load_b128 s[8:11], s[0:1], 0x0
	s_load_b128 s[4:7], s[0:1], 0x58
	;; [unrolled: 1-line block ×3, first 2 shown]
	v_mul_u32_u24_e32 v1, 0x15b, v0
	v_mov_b32_e32 v4, 0
	v_mov_b32_e32 v5, 0
	s_delay_alu instid0(VALU_DEP_3) | instskip(NEXT) | instid1(VALU_DEP_1)
	v_lshrrev_b32_e32 v2, 16, v1
	v_dual_mov_b32 v1, 0 :: v_dual_add_nc_u32 v6, ttmp9, v2
	s_delay_alu instid0(VALU_DEP_1) | instskip(SKIP_2) | instid1(VALU_DEP_1)
	v_mov_b32_e32 v7, v1
	s_wait_kmcnt 0x0
	v_cmp_lt_u64_e64 s2, s[10:11], 2
	s_and_b32 vcc_lo, exec_lo, s2
	s_cbranch_vccnz .LBB0_8
; %bb.1:
	s_load_b64 s[2:3], s[0:1], 0x10
	v_mov_b32_e32 v4, 0
	v_mov_b32_e32 v5, 0
	s_add_nc_u64 s[16:17], s[14:15], 8
	s_add_nc_u64 s[18:19], s[12:13], 8
	s_mov_b64 s[20:21], 1
	s_delay_alu instid0(VALU_DEP_1)
	v_dual_mov_b32 v37, v5 :: v_dual_mov_b32 v36, v4
	s_wait_kmcnt 0x0
	s_add_nc_u64 s[22:23], s[2:3], 8
	s_mov_b32 s3, 0
.LBB0_2:                                ; =>This Inner Loop Header: Depth=1
	s_load_b64 s[24:25], s[22:23], 0x0
                                        ; implicit-def: $vgpr38_vgpr39
	s_mov_b32 s2, exec_lo
	s_wait_kmcnt 0x0
	v_or_b32_e32 v2, s25, v7
	s_delay_alu instid0(VALU_DEP_1)
	v_cmpx_ne_u64_e32 0, v[1:2]
	s_wait_alu 0xfffe
	s_xor_b32 s26, exec_lo, s2
	s_cbranch_execz .LBB0_4
; %bb.3:                                ;   in Loop: Header=BB0_2 Depth=1
	s_cvt_f32_u32 s2, s24
	s_cvt_f32_u32 s27, s25
	s_sub_nc_u64 s[30:31], 0, s[24:25]
	s_wait_alu 0xfffe
	s_delay_alu instid0(SALU_CYCLE_1) | instskip(SKIP_1) | instid1(SALU_CYCLE_2)
	s_fmamk_f32 s2, s27, 0x4f800000, s2
	s_wait_alu 0xfffe
	v_s_rcp_f32 s2, s2
	s_delay_alu instid0(TRANS32_DEP_1) | instskip(SKIP_1) | instid1(SALU_CYCLE_2)
	s_mul_f32 s2, s2, 0x5f7ffffc
	s_wait_alu 0xfffe
	s_mul_f32 s27, s2, 0x2f800000
	s_wait_alu 0xfffe
	s_delay_alu instid0(SALU_CYCLE_2) | instskip(SKIP_1) | instid1(SALU_CYCLE_2)
	s_trunc_f32 s27, s27
	s_wait_alu 0xfffe
	s_fmamk_f32 s2, s27, 0xcf800000, s2
	s_cvt_u32_f32 s29, s27
	s_wait_alu 0xfffe
	s_delay_alu instid0(SALU_CYCLE_1) | instskip(SKIP_1) | instid1(SALU_CYCLE_2)
	s_cvt_u32_f32 s28, s2
	s_wait_alu 0xfffe
	s_mul_u64 s[34:35], s[30:31], s[28:29]
	s_wait_alu 0xfffe
	s_mul_hi_u32 s37, s28, s35
	s_mul_i32 s36, s28, s35
	s_mul_hi_u32 s2, s28, s34
	s_mul_i32 s33, s29, s34
	s_wait_alu 0xfffe
	s_add_nc_u64 s[36:37], s[2:3], s[36:37]
	s_mul_hi_u32 s27, s29, s34
	s_mul_hi_u32 s38, s29, s35
	s_add_co_u32 s2, s36, s33
	s_wait_alu 0xfffe
	s_add_co_ci_u32 s2, s37, s27
	s_mul_i32 s34, s29, s35
	s_add_co_ci_u32 s35, s38, 0
	s_wait_alu 0xfffe
	s_add_nc_u64 s[34:35], s[2:3], s[34:35]
	s_wait_alu 0xfffe
	v_add_co_u32 v2, s2, s28, s34
	s_delay_alu instid0(VALU_DEP_1) | instskip(SKIP_1) | instid1(VALU_DEP_1)
	s_cmp_lg_u32 s2, 0
	s_add_co_ci_u32 s29, s29, s35
	v_readfirstlane_b32 s28, v2
	s_wait_alu 0xfffe
	s_delay_alu instid0(VALU_DEP_1)
	s_mul_u64 s[30:31], s[30:31], s[28:29]
	s_wait_alu 0xfffe
	s_mul_hi_u32 s35, s28, s31
	s_mul_i32 s34, s28, s31
	s_mul_hi_u32 s2, s28, s30
	s_mul_i32 s33, s29, s30
	s_wait_alu 0xfffe
	s_add_nc_u64 s[34:35], s[2:3], s[34:35]
	s_mul_hi_u32 s27, s29, s30
	s_mul_hi_u32 s28, s29, s31
	s_wait_alu 0xfffe
	s_add_co_u32 s2, s34, s33
	s_add_co_ci_u32 s2, s35, s27
	s_mul_i32 s30, s29, s31
	s_add_co_ci_u32 s31, s28, 0
	s_wait_alu 0xfffe
	s_add_nc_u64 s[30:31], s[2:3], s[30:31]
	s_wait_alu 0xfffe
	v_add_co_u32 v8, s2, v2, s30
	s_delay_alu instid0(VALU_DEP_1) | instskip(SKIP_1) | instid1(VALU_DEP_1)
	s_cmp_lg_u32 s2, 0
	s_add_co_ci_u32 s2, s29, s31
	v_mul_hi_u32 v12, v6, v8
	s_wait_alu 0xfffe
	v_mad_co_u64_u32 v[2:3], null, v6, s2, 0
	v_mad_co_u64_u32 v[8:9], null, v7, v8, 0
	;; [unrolled: 1-line block ×3, first 2 shown]
	s_delay_alu instid0(VALU_DEP_3) | instskip(SKIP_1) | instid1(VALU_DEP_4)
	v_add_co_u32 v2, vcc_lo, v12, v2
	s_wait_alu 0xfffd
	v_add_co_ci_u32_e32 v3, vcc_lo, 0, v3, vcc_lo
	s_delay_alu instid0(VALU_DEP_2) | instskip(SKIP_1) | instid1(VALU_DEP_2)
	v_add_co_u32 v2, vcc_lo, v2, v8
	s_wait_alu 0xfffd
	v_add_co_ci_u32_e32 v2, vcc_lo, v3, v9, vcc_lo
	s_wait_alu 0xfffd
	v_add_co_ci_u32_e32 v3, vcc_lo, 0, v11, vcc_lo
	s_delay_alu instid0(VALU_DEP_2) | instskip(SKIP_1) | instid1(VALU_DEP_2)
	v_add_co_u32 v8, vcc_lo, v2, v10
	s_wait_alu 0xfffd
	v_add_co_ci_u32_e32 v9, vcc_lo, 0, v3, vcc_lo
	s_delay_alu instid0(VALU_DEP_2) | instskip(SKIP_1) | instid1(VALU_DEP_3)
	v_mul_lo_u32 v10, s25, v8
	v_mad_co_u64_u32 v[2:3], null, s24, v8, 0
	v_mul_lo_u32 v11, s24, v9
	s_delay_alu instid0(VALU_DEP_2) | instskip(NEXT) | instid1(VALU_DEP_2)
	v_sub_co_u32 v2, vcc_lo, v6, v2
	v_add3_u32 v3, v3, v11, v10
	s_delay_alu instid0(VALU_DEP_1) | instskip(SKIP_1) | instid1(VALU_DEP_1)
	v_sub_nc_u32_e32 v10, v7, v3
	s_wait_alu 0xfffd
	v_subrev_co_ci_u32_e64 v10, s2, s25, v10, vcc_lo
	v_add_co_u32 v11, s2, v8, 2
	s_wait_alu 0xf1ff
	v_add_co_ci_u32_e64 v12, s2, 0, v9, s2
	v_sub_co_u32 v13, s2, v2, s24
	v_sub_co_ci_u32_e32 v3, vcc_lo, v7, v3, vcc_lo
	s_wait_alu 0xf1ff
	v_subrev_co_ci_u32_e64 v10, s2, 0, v10, s2
	s_delay_alu instid0(VALU_DEP_3) | instskip(NEXT) | instid1(VALU_DEP_3)
	v_cmp_le_u32_e32 vcc_lo, s24, v13
	v_cmp_eq_u32_e64 s2, s25, v3
	s_wait_alu 0xfffd
	v_cndmask_b32_e64 v13, 0, -1, vcc_lo
	v_cmp_le_u32_e32 vcc_lo, s25, v10
	s_wait_alu 0xfffd
	v_cndmask_b32_e64 v14, 0, -1, vcc_lo
	v_cmp_le_u32_e32 vcc_lo, s24, v2
	;; [unrolled: 3-line block ×3, first 2 shown]
	s_wait_alu 0xfffd
	v_cndmask_b32_e64 v15, 0, -1, vcc_lo
	v_cmp_eq_u32_e32 vcc_lo, s25, v10
	s_wait_alu 0xf1ff
	s_delay_alu instid0(VALU_DEP_2)
	v_cndmask_b32_e64 v2, v15, v2, s2
	s_wait_alu 0xfffd
	v_cndmask_b32_e32 v10, v14, v13, vcc_lo
	v_add_co_u32 v13, vcc_lo, v8, 1
	s_wait_alu 0xfffd
	v_add_co_ci_u32_e32 v14, vcc_lo, 0, v9, vcc_lo
	s_delay_alu instid0(VALU_DEP_3) | instskip(SKIP_1) | instid1(VALU_DEP_2)
	v_cmp_ne_u32_e32 vcc_lo, 0, v10
	s_wait_alu 0xfffd
	v_dual_cndmask_b32 v3, v14, v12 :: v_dual_cndmask_b32 v10, v13, v11
	v_cmp_ne_u32_e32 vcc_lo, 0, v2
	s_wait_alu 0xfffd
	s_delay_alu instid0(VALU_DEP_2)
	v_dual_cndmask_b32 v39, v9, v3 :: v_dual_cndmask_b32 v38, v8, v10
.LBB0_4:                                ;   in Loop: Header=BB0_2 Depth=1
	s_wait_alu 0xfffe
	s_and_not1_saveexec_b32 s2, s26
	s_cbranch_execz .LBB0_6
; %bb.5:                                ;   in Loop: Header=BB0_2 Depth=1
	v_cvt_f32_u32_e32 v2, s24
	s_sub_co_i32 s26, 0, s24
	v_mov_b32_e32 v39, v1
	s_delay_alu instid0(VALU_DEP_2) | instskip(NEXT) | instid1(TRANS32_DEP_1)
	v_rcp_iflag_f32_e32 v2, v2
	v_mul_f32_e32 v2, 0x4f7ffffe, v2
	s_delay_alu instid0(VALU_DEP_1) | instskip(SKIP_1) | instid1(VALU_DEP_1)
	v_cvt_u32_f32_e32 v2, v2
	s_wait_alu 0xfffe
	v_mul_lo_u32 v3, s26, v2
	s_delay_alu instid0(VALU_DEP_1) | instskip(NEXT) | instid1(VALU_DEP_1)
	v_mul_hi_u32 v3, v2, v3
	v_add_nc_u32_e32 v2, v2, v3
	s_delay_alu instid0(VALU_DEP_1) | instskip(NEXT) | instid1(VALU_DEP_1)
	v_mul_hi_u32 v2, v6, v2
	v_mul_lo_u32 v3, v2, s24
	v_add_nc_u32_e32 v8, 1, v2
	s_delay_alu instid0(VALU_DEP_2) | instskip(NEXT) | instid1(VALU_DEP_1)
	v_sub_nc_u32_e32 v3, v6, v3
	v_subrev_nc_u32_e32 v9, s24, v3
	v_cmp_le_u32_e32 vcc_lo, s24, v3
	s_wait_alu 0xfffd
	s_delay_alu instid0(VALU_DEP_2) | instskip(NEXT) | instid1(VALU_DEP_1)
	v_dual_cndmask_b32 v3, v3, v9 :: v_dual_cndmask_b32 v2, v2, v8
	v_cmp_le_u32_e32 vcc_lo, s24, v3
	s_delay_alu instid0(VALU_DEP_2) | instskip(SKIP_1) | instid1(VALU_DEP_1)
	v_add_nc_u32_e32 v8, 1, v2
	s_wait_alu 0xfffd
	v_cndmask_b32_e32 v38, v2, v8, vcc_lo
.LBB0_6:                                ;   in Loop: Header=BB0_2 Depth=1
	s_wait_alu 0xfffe
	s_or_b32 exec_lo, exec_lo, s2
	v_mul_lo_u32 v8, v39, s24
	s_delay_alu instid0(VALU_DEP_2)
	v_mul_lo_u32 v9, v38, s25
	s_load_b64 s[26:27], s[18:19], 0x0
	v_mad_co_u64_u32 v[2:3], null, v38, s24, 0
	s_load_b64 s[24:25], s[16:17], 0x0
	s_add_nc_u64 s[20:21], s[20:21], 1
	s_add_nc_u64 s[16:17], s[16:17], 8
	s_wait_alu 0xfffe
	v_cmp_ge_u64_e64 s2, s[20:21], s[10:11]
	s_add_nc_u64 s[18:19], s[18:19], 8
	s_add_nc_u64 s[22:23], s[22:23], 8
	v_add3_u32 v3, v3, v9, v8
	v_sub_co_u32 v2, vcc_lo, v6, v2
	s_wait_alu 0xfffd
	s_delay_alu instid0(VALU_DEP_2) | instskip(SKIP_2) | instid1(VALU_DEP_1)
	v_sub_co_ci_u32_e32 v3, vcc_lo, v7, v3, vcc_lo
	s_and_b32 vcc_lo, exec_lo, s2
	s_wait_kmcnt 0x0
	v_mul_lo_u32 v6, s26, v3
	v_mul_lo_u32 v7, s27, v2
	v_mad_co_u64_u32 v[4:5], null, s26, v2, v[4:5]
	v_mul_lo_u32 v3, s24, v3
	v_mul_lo_u32 v8, s25, v2
	v_mad_co_u64_u32 v[36:37], null, s24, v2, v[36:37]
	s_delay_alu instid0(VALU_DEP_4) | instskip(NEXT) | instid1(VALU_DEP_2)
	v_add3_u32 v5, v7, v5, v6
	v_add3_u32 v37, v8, v37, v3
	s_wait_alu 0xfffe
	s_cbranch_vccnz .LBB0_9
; %bb.7:                                ;   in Loop: Header=BB0_2 Depth=1
	v_dual_mov_b32 v6, v38 :: v_dual_mov_b32 v7, v39
	s_branch .LBB0_2
.LBB0_8:
	v_dual_mov_b32 v37, v5 :: v_dual_mov_b32 v36, v4
	v_dual_mov_b32 v39, v7 :: v_dual_mov_b32 v38, v6
.LBB0_9:
	s_load_b64 s[0:1], s[0:1], 0x28
	v_mul_hi_u32 v1, 0x15ac057, v0
	s_lshl_b64 s[10:11], s[10:11], 3
                                        ; implicit-def: $vgpr41
	s_wait_alu 0xfffe
	s_add_nc_u64 s[2:3], s[14:15], s[10:11]
                                        ; implicit-def: $sgpr14
	s_wait_kmcnt 0x0
	v_cmp_gt_u64_e32 vcc_lo, s[0:1], v[38:39]
	v_cmp_le_u64_e64 s0, s[0:1], v[38:39]
	s_delay_alu instid0(VALU_DEP_1)
	s_and_saveexec_b32 s1, s0
	s_wait_alu 0xfffe
	s_xor_b32 s0, exec_lo, s1
; %bb.10:
	v_mul_u32_u24_e32 v1, 0xbd, v1
	s_mov_b32 s14, 0
                                        ; implicit-def: $vgpr4_vgpr5
	s_delay_alu instid0(VALU_DEP_1)
	v_sub_nc_u32_e32 v41, v0, v1
                                        ; implicit-def: $vgpr1
                                        ; implicit-def: $vgpr0
; %bb.11:
	s_wait_alu 0xfffe
	s_or_saveexec_b32 s1, s0
	s_load_b64 s[2:3], s[2:3], 0x0
	v_mov_b32_e32 v40, s14
                                        ; implicit-def: $vgpr34_vgpr35
                                        ; implicit-def: $vgpr30_vgpr31
                                        ; implicit-def: $vgpr26_vgpr27
                                        ; implicit-def: $vgpr10_vgpr11
                                        ; implicit-def: $vgpr18_vgpr19
                                        ; implicit-def: $vgpr14_vgpr15
                                        ; implicit-def: $vgpr6_vgpr7
                                        ; implicit-def: $vgpr22_vgpr23
                                        ; implicit-def: $vgpr2_vgpr3
	s_xor_b32 exec_lo, exec_lo, s1
	s_cbranch_execz .LBB0_15
; %bb.12:
	s_add_nc_u64 s[10:11], s[12:13], s[10:11]
                                        ; implicit-def: $vgpr24_vgpr25
                                        ; implicit-def: $vgpr28_vgpr29
                                        ; implicit-def: $vgpr32_vgpr33
	s_load_b64 s[10:11], s[10:11], 0x0
	s_wait_kmcnt 0x0
	v_mul_lo_u32 v6, s11, v38
	v_mul_lo_u32 v7, s10, v39
	v_mad_co_u64_u32 v[2:3], null, s10, v38, 0
	s_delay_alu instid0(VALU_DEP_1) | instskip(SKIP_1) | instid1(VALU_DEP_2)
	v_add3_u32 v3, v3, v7, v6
	v_mul_u32_u24_e32 v6, 0xbd, v1
	v_lshlrev_b64_e32 v[1:2], 4, v[2:3]
	v_lshlrev_b64_e32 v[3:4], 4, v[4:5]
	s_delay_alu instid0(VALU_DEP_3) | instskip(NEXT) | instid1(VALU_DEP_3)
	v_sub_nc_u32_e32 v41, v0, v6
	v_add_co_u32 v0, s0, s4, v1
	s_wait_alu 0xf1ff
	s_delay_alu instid0(VALU_DEP_4) | instskip(NEXT) | instid1(VALU_DEP_3)
	v_add_co_ci_u32_e64 v1, s0, s5, v2, s0
	v_lshlrev_b32_e32 v2, 4, v41
	s_delay_alu instid0(VALU_DEP_3) | instskip(SKIP_1) | instid1(VALU_DEP_3)
	v_add_co_u32 v0, s0, v0, v3
	s_wait_alu 0xf1ff
	v_add_co_ci_u32_e64 v1, s0, v1, v4, s0
	s_mov_b32 s4, exec_lo
	s_delay_alu instid0(VALU_DEP_2) | instskip(SKIP_1) | instid1(VALU_DEP_2)
	v_add_co_u32 v34, s0, v0, v2
	s_wait_alu 0xf1ff
	v_add_co_ci_u32_e64 v35, s0, 0, v1, s0
	s_clause 0x5
	global_load_b128 v[0:3], v[34:35], off
	global_load_b128 v[12:15], v[34:35], off offset:3024
	global_load_b128 v[20:23], v[34:35], off offset:7056
	;; [unrolled: 1-line block ×5, first 2 shown]
	v_cmpx_gt_u32_e32 63, v41
; %bb.13:
	s_clause 0x2
	global_load_b128 v[24:27], v[34:35], off offset:6048
	global_load_b128 v[28:31], v[34:35], off offset:13104
	;; [unrolled: 1-line block ×3, first 2 shown]
; %bb.14:
	s_wait_alu 0xfffe
	s_or_b32 exec_lo, exec_lo, s4
	v_mov_b32_e32 v40, v41
.LBB0_15:
	s_or_b32 exec_lo, exec_lo, s1
	s_wait_loadcnt 0x0
	v_add_f64_e32 v[46:47], v[8:9], v[16:17]
	v_add_f64_e32 v[48:49], v[10:11], v[18:19]
	;; [unrolled: 1-line block ×7, first 2 shown]
	v_add_f64_e64 v[56:57], v[22:23], -v[6:7]
	v_add_f64_e32 v[22:23], v[22:23], v[2:3]
	v_add_f64_e32 v[58:59], v[16:17], v[12:13]
	;; [unrolled: 1-line block ×5, first 2 shown]
	v_add_f64_e64 v[18:19], v[18:19], -v[10:11]
	v_add_f64_e64 v[16:17], v[16:17], -v[8:9]
	;; [unrolled: 1-line block ×3, first 2 shown]
	s_mov_b32 s0, 0xe8584caa
	s_mov_b32 s1, 0xbfebb67a
	;; [unrolled: 1-line block ×3, first 2 shown]
	s_wait_alu 0xfffe
	s_mov_b32 s4, s0
	v_fma_f64 v[12:13], v[46:47], -0.5, v[12:13]
	v_fma_f64 v[14:15], v[48:49], -0.5, v[14:15]
	v_add_f64_e64 v[46:47], v[30:31], -v[34:35]
	v_fma_f64 v[48:49], v[50:51], -0.5, v[24:25]
	v_add_f64_e64 v[50:51], v[28:29], -v[32:33]
	v_fma_f64 v[52:53], v[52:53], -0.5, v[26:27]
	v_fma_f64 v[42:43], v[42:43], -0.5, v[0:1]
	;; [unrolled: 1-line block ×3, first 2 shown]
	v_add_f64_e32 v[4:5], v[4:5], v[54:55]
	v_add_f64_e32 v[6:7], v[6:7], v[22:23]
	;; [unrolled: 1-line block ×6, first 2 shown]
	v_fma_f64 v[28:29], v[18:19], s[0:1], v[12:13]
	s_wait_alu 0xfffe
	v_fma_f64 v[32:33], v[18:19], s[4:5], v[12:13]
	v_fma_f64 v[30:31], v[16:17], s[4:5], v[14:15]
	;; [unrolled: 1-line block ×11, first 2 shown]
	v_mad_u32_u24 v42, v41, 48, 0
	v_cmp_gt_u32_e64 s0, 63, v41
	ds_store_b128 v42, v[4:7]
	ds_store_b128 v42, v[20:23] offset:16
	ds_store_b128 v42, v[24:27] offset:32
	;; [unrolled: 1-line block ×5, first 2 shown]
	s_and_saveexec_b32 s1, s0
	s_cbranch_execz .LBB0_17
; %bb.16:
	ds_store_b128 v42, v[0:3] offset:18144
	ds_store_b128 v42, v[12:15] offset:18160
	;; [unrolled: 1-line block ×3, first 2 shown]
.LBB0_17:
	s_wait_alu 0xfffe
	s_or_b32 exec_lo, exec_lo, s1
	v_lshlrev_b32_e32 v43, 5, v41
	global_wb scope:SCOPE_SE
	s_wait_dscnt 0x0
	s_wait_kmcnt 0x0
	s_barrier_signal -1
	s_barrier_wait -1
	global_inv scope:SCOPE_SE
	v_sub_nc_u32_e32 v24, v42, v43
	v_sub_nc_u32_e32 v43, 0, v43
	ds_load_b128 v[8:11], v24
	ds_load_b128 v[4:7], v24 offset:3024
	ds_load_b128 v[32:35], v24 offset:7056
	ds_load_b128 v[20:23], v24 offset:10080
	ds_load_b128 v[28:31], v24 offset:14112
	ds_load_b128 v[24:27], v24 offset:17136
	v_add_nc_u32_e32 v42, v42, v43
	s_and_saveexec_b32 s1, s0
	s_cbranch_execz .LBB0_19
; %bb.18:
	ds_load_b128 v[0:3], v42 offset:6048
	ds_load_b128 v[12:15], v42 offset:13104
	;; [unrolled: 1-line block ×3, first 2 shown]
.LBB0_19:
	s_wait_alu 0xfffe
	s_or_b32 exec_lo, exec_lo, s1
	v_and_b32_e32 v44, 0xff, v41
	v_add_nc_u32_e32 v47, 0xbd, v41
	v_add_nc_u32_e32 v45, 0x17a, v41
	s_mov_b32 s4, 0xe8584caa
	s_mov_b32 s5, 0xbfebb67a
	v_mul_lo_u16 v43, 0xab, v44
	v_and_b32_e32 v48, 0xffff, v47
	v_and_b32_e32 v46, 0xffff, v45
	s_mov_b32 s11, 0x3febb67a
	s_wait_alu 0xfffe
	s_mov_b32 s10, s4
	v_lshrrev_b16 v86, 9, v43
	v_mul_u32_u24_e32 v49, 0xaaab, v46
	s_delay_alu instid0(VALU_DEP_2) | instskip(NEXT) | instid1(VALU_DEP_1)
	v_mul_lo_u16 v43, v86, 3
	v_sub_nc_u16 v43, v41, v43
	s_delay_alu instid0(VALU_DEP_1) | instskip(SKIP_1) | instid1(VALU_DEP_2)
	v_and_b32_e32 v87, 0xff, v43
	v_mul_u32_u24_e32 v43, 0xaaab, v48
	v_lshlrev_b32_e32 v54, 5, v87
	s_delay_alu instid0(VALU_DEP_2) | instskip(SKIP_4) | instid1(VALU_DEP_2)
	v_lshrrev_b32_e32 v88, 17, v43
	v_lshrrev_b32_e32 v43, 17, v49
	global_load_b128 v[50:53], v54, s[8:9]
	v_mul_lo_u16 v49, v88, 3
	v_mul_lo_u16 v55, v43, 3
	v_sub_nc_u16 v49, v47, v49
	s_delay_alu instid0(VALU_DEP_2) | instskip(NEXT) | instid1(VALU_DEP_2)
	v_sub_nc_u16 v55, v45, v55
	v_and_b32_e32 v89, 0xffff, v49
	s_delay_alu instid0(VALU_DEP_2)
	v_and_b32_e32 v49, 0xffff, v55
	global_load_b128 v[54:57], v54, s[8:9] offset:16
	v_lshlrev_b32_e32 v62, 5, v89
	v_lshlrev_b32_e32 v70, 5, v49
	s_clause 0x3
	global_load_b128 v[58:61], v62, s[8:9]
	global_load_b128 v[62:65], v62, s[8:9] offset:16
	global_load_b128 v[66:69], v70, s[8:9]
	global_load_b128 v[70:73], v70, s[8:9] offset:16
	global_wb scope:SCOPE_SE
	s_wait_loadcnt_dscnt 0x0
	s_barrier_signal -1
	s_barrier_wait -1
	global_inv scope:SCOPE_SE
	v_mul_f64_e32 v[74:75], v[34:35], v[52:53]
	v_mul_f64_e32 v[52:53], v[32:33], v[52:53]
	;; [unrolled: 1-line block ×10, first 2 shown]
	v_fma_f64 v[32:33], v[32:33], v[50:51], v[74:75]
	v_fma_f64 v[34:35], v[34:35], v[50:51], -v[52:53]
	v_mul_f64_e32 v[50:51], v[12:13], v[68:69]
	v_mul_f64_e32 v[52:53], v[16:17], v[72:73]
	v_fma_f64 v[28:29], v[28:29], v[54:55], v[76:77]
	v_fma_f64 v[30:31], v[30:31], v[54:55], -v[56:57]
	v_fma_f64 v[20:21], v[20:21], v[58:59], v[78:79]
	v_fma_f64 v[22:23], v[22:23], v[58:59], -v[60:61]
	;; [unrolled: 2-line block ×3, first 2 shown]
	v_fma_f64 v[12:13], v[12:13], v[66:67], v[82:83]
	v_fma_f64 v[54:55], v[16:17], v[70:71], v[84:85]
	v_add_f64_e32 v[62:63], v[8:9], v[32:33]
	v_fma_f64 v[14:15], v[14:15], v[66:67], -v[50:51]
	v_fma_f64 v[50:51], v[18:19], v[70:71], -v[52:53]
	v_add_f64_e32 v[16:17], v[32:33], v[28:29]
	v_add_f64_e32 v[18:19], v[34:35], v[30:31]
	v_add_f64_e64 v[64:65], v[34:35], -v[30:31]
	v_add_f64_e32 v[34:35], v[10:11], v[34:35]
	v_add_f64_e64 v[32:33], v[32:33], -v[28:29]
	v_add_f64_e32 v[66:67], v[4:5], v[20:21]
	v_add_f64_e32 v[68:69], v[6:7], v[22:23]
	;; [unrolled: 1-line block ×6, first 2 shown]
	v_add_f64_e64 v[74:75], v[22:23], -v[26:27]
	v_add_f64_e64 v[76:77], v[12:13], -v[54:55]
	v_add_f64_e32 v[12:13], v[62:63], v[28:29]
	v_add_f64_e32 v[72:73], v[2:3], v[14:15]
	;; [unrolled: 1-line block ×3, first 2 shown]
	v_fma_f64 v[8:9], v[16:17], -0.5, v[8:9]
	v_fma_f64 v[10:11], v[18:19], -0.5, v[10:11]
	v_add_f64_e32 v[16:17], v[66:67], v[24:25]
	v_add_f64_e32 v[18:19], v[68:69], v[26:27]
	v_fma_f64 v[4:5], v[52:53], -0.5, v[4:5]
	v_add_f64_e64 v[52:53], v[20:21], -v[24:25]
	v_fma_f64 v[6:7], v[56:57], -0.5, v[6:7]
	v_add_f64_e64 v[56:57], v[14:15], -v[50:51]
	v_fma_f64 v[58:59], v[58:59], -0.5, v[0:1]
	v_add_f64_e32 v[14:15], v[34:35], v[30:31]
	v_add_f64_e32 v[0:1], v[70:71], v[54:55]
	v_fma_f64 v[60:61], v[60:61], -0.5, v[2:3]
	v_add_f64_e32 v[2:3], v[72:73], v[50:51]
	v_and_b32_e32 v50, 0xffff, v86
	v_lshlrev_b32_e32 v51, 4, v87
	s_delay_alu instid0(VALU_DEP_2)
	v_mul_u32_u24_e32 v50, 0x90, v50
	v_fma_f64 v[20:21], v[64:65], s[4:5], v[8:9]
	s_wait_alu 0xfffe
	v_fma_f64 v[24:25], v[64:65], s[10:11], v[8:9]
	v_fma_f64 v[22:23], v[32:33], s[10:11], v[10:11]
	;; [unrolled: 1-line block ×3, first 2 shown]
	v_add3_u32 v50, 0, v50, v51
	v_fma_f64 v[28:29], v[74:75], s[4:5], v[4:5]
	v_fma_f64 v[32:33], v[74:75], s[10:11], v[4:5]
	;; [unrolled: 1-line block ×6, first 2 shown]
	v_mul_u32_u24_e32 v52, 0x90, v88
	v_lshlrev_b32_e32 v53, 4, v89
	s_delay_alu instid0(VALU_DEP_1)
	v_add3_u32 v51, 0, v52, v53
	ds_store_b128 v50, v[12:15]
	ds_store_b128 v50, v[20:23] offset:48
	ds_store_b128 v50, v[24:27] offset:96
	ds_store_b128 v51, v[16:19]
	ds_store_b128 v51, v[28:31] offset:48
	ds_store_b128 v51, v[32:35] offset:96
	v_fma_f64 v[6:7], v[76:77], s[10:11], v[60:61]
	v_fma_f64 v[10:11], v[76:77], s[4:5], v[60:61]
	s_and_saveexec_b32 s1, s0
	s_cbranch_execz .LBB0_21
; %bb.20:
	v_mul_lo_u16 v12, v43, 9
	v_lshlrev_b32_e32 v13, 4, v49
	s_delay_alu instid0(VALU_DEP_2) | instskip(NEXT) | instid1(VALU_DEP_1)
	v_and_b32_e32 v12, 0xffff, v12
	v_lshlrev_b32_e32 v12, 4, v12
	s_delay_alu instid0(VALU_DEP_1)
	v_add3_u32 v12, 0, v13, v12
	ds_store_b128 v12, v[0:3]
	ds_store_b128 v12, v[4:7] offset:48
	ds_store_b128 v12, v[8:11] offset:96
.LBB0_21:
	s_wait_alu 0xfffe
	s_or_b32 exec_lo, exec_lo, s1
	global_wb scope:SCOPE_SE
	s_wait_dscnt 0x0
	s_barrier_signal -1
	s_barrier_wait -1
	global_inv scope:SCOPE_SE
	ds_load_b128 v[16:19], v42
	ds_load_b128 v[12:15], v42 offset:3024
	ds_load_b128 v[28:31], v42 offset:7056
	;; [unrolled: 1-line block ×5, first 2 shown]
	v_lshl_add_u32 v43, v41, 4, 0
	s_and_saveexec_b32 s1, s0
	s_cbranch_execz .LBB0_23
; %bb.22:
	ds_load_b128 v[0:3], v43 offset:6048
	ds_load_b128 v[4:7], v42 offset:13104
	;; [unrolled: 1-line block ×3, first 2 shown]
.LBB0_23:
	s_wait_alu 0xfffe
	s_or_b32 exec_lo, exec_lo, s1
	v_mul_lo_u16 v49, v44, 57
	v_mul_u32_u24_e32 v48, 0xe38f, v48
	s_mov_b32 s10, s4
	s_delay_alu instid0(VALU_DEP_2) | instskip(NEXT) | instid1(VALU_DEP_2)
	v_lshrrev_b16 v71, 9, v49
	v_lshrrev_b32_e32 v72, 19, v48
	s_delay_alu instid0(VALU_DEP_2) | instskip(NEXT) | instid1(VALU_DEP_2)
	v_mul_lo_u16 v48, v71, 9
	v_mul_lo_u16 v49, v72, 9
	s_delay_alu instid0(VALU_DEP_2) | instskip(NEXT) | instid1(VALU_DEP_2)
	v_sub_nc_u16 v48, v41, v48
	v_sub_nc_u16 v47, v47, v49
	s_delay_alu instid0(VALU_DEP_2) | instskip(NEXT) | instid1(VALU_DEP_2)
	v_and_b32_e32 v73, 0xff, v48
	v_and_b32_e32 v74, 0xffff, v47
	s_delay_alu instid0(VALU_DEP_2) | instskip(NEXT) | instid1(VALU_DEP_2)
	v_lshlrev_b32_e32 v51, 5, v73
	v_lshlrev_b32_e32 v59, 5, v74
	s_clause 0x3
	global_load_b128 v[47:50], v51, s[8:9] offset:96
	global_load_b128 v[51:54], v51, s[8:9] offset:112
	;; [unrolled: 1-line block ×4, first 2 shown]
	global_wb scope:SCOPE_SE
	s_wait_loadcnt_dscnt 0x0
	s_barrier_signal -1
	s_barrier_wait -1
	global_inv scope:SCOPE_SE
	v_mul_f64_e32 v[63:64], v[30:31], v[49:50]
	v_mul_f64_e32 v[65:66], v[34:35], v[53:54]
	;; [unrolled: 1-line block ×8, first 2 shown]
	v_fma_f64 v[28:29], v[28:29], v[47:48], v[63:64]
	v_fma_f64 v[32:33], v[32:33], v[51:52], v[65:66]
	v_fma_f64 v[30:31], v[30:31], v[47:48], -v[49:50]
	v_fma_f64 v[34:35], v[34:35], v[51:52], -v[53:54]
	v_fma_f64 v[20:21], v[20:21], v[55:56], v[67:68]
	v_fma_f64 v[24:25], v[24:25], v[59:60], v[69:70]
	v_fma_f64 v[22:23], v[22:23], v[55:56], -v[57:58]
	v_fma_f64 v[26:27], v[26:27], v[59:60], -v[61:62]
	v_add_f64_e32 v[55:56], v[16:17], v[28:29]
	v_add_f64_e32 v[47:48], v[28:29], v[32:33]
	v_add_f64_e64 v[28:29], v[28:29], -v[32:33]
	v_add_f64_e32 v[49:50], v[30:31], v[34:35]
	v_add_f64_e64 v[57:58], v[30:31], -v[34:35]
	v_add_f64_e32 v[51:52], v[20:21], v[24:25]
	v_add_f64_e32 v[30:31], v[18:19], v[30:31]
	;; [unrolled: 1-line block ×5, first 2 shown]
	v_add_f64_e64 v[63:64], v[22:23], -v[26:27]
	v_add_f64_e64 v[65:66], v[20:21], -v[24:25]
	v_fma_f64 v[47:48], v[47:48], -0.5, v[16:17]
	v_fma_f64 v[49:50], v[49:50], -0.5, v[18:19]
	;; [unrolled: 1-line block ×3, first 2 shown]
	v_add_f64_e32 v[12:13], v[55:56], v[32:33]
	v_fma_f64 v[53:54], v[53:54], -0.5, v[14:15]
	v_add_f64_e32 v[14:15], v[30:31], v[34:35]
	v_add_f64_e32 v[16:17], v[59:60], v[24:25]
	;; [unrolled: 1-line block ×3, first 2 shown]
	v_fma_f64 v[20:21], v[57:58], s[4:5], v[47:48]
	s_wait_alu 0xfffe
	v_fma_f64 v[24:25], v[57:58], s[10:11], v[47:48]
	v_fma_f64 v[22:23], v[28:29], s[10:11], v[49:50]
	;; [unrolled: 1-line block ×7, first 2 shown]
	v_and_b32_e32 v47, 0xffff, v71
	v_lshlrev_b32_e32 v48, 4, v73
	v_mul_u32_u24_e32 v49, 0x1b0, v72
	v_lshlrev_b32_e32 v50, 4, v74
	s_delay_alu instid0(VALU_DEP_4) | instskip(NEXT) | instid1(VALU_DEP_1)
	v_mul_u32_u24_e32 v47, 0x1b0, v47
	v_add3_u32 v47, 0, v47, v48
	s_delay_alu instid0(VALU_DEP_3)
	v_add3_u32 v48, 0, v49, v50
	ds_store_b128 v47, v[12:15]
	ds_store_b128 v47, v[20:23] offset:144
	ds_store_b128 v47, v[24:27] offset:288
	ds_store_b128 v48, v[16:19]
	ds_store_b128 v48, v[28:31] offset:144
	ds_store_b128 v48, v[32:35] offset:288
	s_and_saveexec_b32 s1, s0
	s_cbranch_execz .LBB0_25
; %bb.24:
	v_mul_u32_u24_e32 v12, 0xe38f, v46
	s_delay_alu instid0(VALU_DEP_1) | instskip(NEXT) | instid1(VALU_DEP_1)
	v_lshrrev_b32_e32 v24, 19, v12
	v_mul_lo_u16 v12, v24, 9
	s_delay_alu instid0(VALU_DEP_1) | instskip(NEXT) | instid1(VALU_DEP_1)
	v_sub_nc_u16 v12, v45, v12
	v_and_b32_e32 v25, 0xffff, v12
	s_delay_alu instid0(VALU_DEP_1)
	v_lshlrev_b32_e32 v16, 5, v25
	s_clause 0x1
	global_load_b128 v[12:15], v16, s[8:9] offset:96
	global_load_b128 v[16:19], v16, s[8:9] offset:112
	s_wait_loadcnt 0x1
	v_mul_f64_e32 v[20:21], v[4:5], v[14:15]
	s_wait_loadcnt 0x0
	v_mul_f64_e32 v[22:23], v[8:9], v[18:19]
	v_mul_f64_e32 v[14:15], v[6:7], v[14:15]
	;; [unrolled: 1-line block ×3, first 2 shown]
	s_delay_alu instid0(VALU_DEP_4) | instskip(NEXT) | instid1(VALU_DEP_4)
	v_fma_f64 v[6:7], v[6:7], v[12:13], -v[20:21]
	v_fma_f64 v[10:11], v[10:11], v[16:17], -v[22:23]
	s_delay_alu instid0(VALU_DEP_4) | instskip(NEXT) | instid1(VALU_DEP_4)
	v_fma_f64 v[4:5], v[4:5], v[12:13], v[14:15]
	v_fma_f64 v[8:9], v[8:9], v[16:17], v[18:19]
	s_delay_alu instid0(VALU_DEP_4) | instskip(NEXT) | instid1(VALU_DEP_4)
	v_add_f64_e32 v[18:19], v[2:3], v[6:7]
	v_add_f64_e32 v[12:13], v[6:7], v[10:11]
	v_add_f64_e64 v[20:21], v[6:7], -v[10:11]
	s_delay_alu instid0(VALU_DEP_4)
	v_add_f64_e32 v[14:15], v[4:5], v[8:9]
	v_add_f64_e64 v[16:17], v[4:5], -v[8:9]
	v_add_f64_e32 v[4:5], v[0:1], v[4:5]
	v_fma_f64 v[12:13], v[12:13], -0.5, v[2:3]
	v_add_f64_e32 v[2:3], v[18:19], v[10:11]
	v_fma_f64 v[14:15], v[14:15], -0.5, v[0:1]
	s_delay_alu instid0(VALU_DEP_4) | instskip(NEXT) | instid1(VALU_DEP_4)
	v_add_f64_e32 v[0:1], v[4:5], v[8:9]
	v_fma_f64 v[10:11], v[16:17], s[10:11], v[12:13]
	v_fma_f64 v[6:7], v[16:17], s[4:5], v[12:13]
	s_delay_alu instid0(VALU_DEP_4) | instskip(SKIP_3) | instid1(VALU_DEP_2)
	v_fma_f64 v[8:9], v[20:21], s[4:5], v[14:15]
	v_fma_f64 v[4:5], v[20:21], s[10:11], v[14:15]
	v_mul_lo_u16 v12, v24, 27
	v_lshlrev_b32_e32 v13, 4, v25
	v_and_b32_e32 v12, 0xffff, v12
	s_delay_alu instid0(VALU_DEP_1) | instskip(NEXT) | instid1(VALU_DEP_1)
	v_lshlrev_b32_e32 v12, 4, v12
	v_add3_u32 v12, 0, v13, v12
	ds_store_b128 v12, v[0:3]
	ds_store_b128 v12, v[8:11] offset:144
	ds_store_b128 v12, v[4:7] offset:288
.LBB0_25:
	s_wait_alu 0xfffe
	s_or_b32 exec_lo, exec_lo, s1
	v_mul_lo_u16 v0, v44, 19
	global_wb scope:SCOPE_SE
	s_wait_dscnt 0x0
	s_barrier_signal -1
	s_barrier_wait -1
	global_inv scope:SCOPE_SE
	v_lshrrev_b16 v68, 9, v0
	s_mov_b32 s4, 0x37e14327
	s_mov_b32 s10, 0xe976ee23
	s_mov_b32 s5, 0x3fe948f6
	s_mov_b32 s11, 0x3fe11646
	v_mul_lo_u16 v0, v68, 27
	s_mov_b32 s0, 0x429ad128
	s_mov_b32 s1, 0xbfebfeb5
	;; [unrolled: 1-line block ×4, first 2 shown]
	v_sub_nc_u16 v0, v41, v0
	s_mov_b32 s12, 0xaaaaaaaa
	s_mov_b32 s20, 0xb247c609
	;; [unrolled: 1-line block ×4, first 2 shown]
	v_and_b32_e32 v69, 0xff, v0
	s_mov_b32 s21, 0xbfd5d0dc
	s_mov_b32 s15, 0x3fe77f67
	;; [unrolled: 1-line block ×4, first 2 shown]
	v_mul_u32_u24_e32 v0, 6, v69
	s_wait_alu 0xfffe
	s_mov_b32 s18, s14
	s_mov_b32 s22, s20
	;; [unrolled: 1-line block ×4, first 2 shown]
	v_lshlrev_b32_e32 v20, 4, v0
	s_clause 0x5
	global_load_b128 v[0:3], v20, s[8:9] offset:384
	global_load_b128 v[4:7], v20, s[8:9] offset:400
	;; [unrolled: 1-line block ×6, first 2 shown]
	ds_load_b128 v[24:27], v42 offset:3024
	ds_load_b128 v[28:31], v43 offset:6048
	;; [unrolled: 1-line block ×6, first 2 shown]
	s_wait_loadcnt_dscnt 0x505
	v_mul_f64_e32 v[56:57], v[26:27], v[2:3]
	v_mul_f64_e32 v[2:3], v[24:25], v[2:3]
	s_wait_loadcnt_dscnt 0x404
	v_mul_f64_e32 v[58:59], v[30:31], v[6:7]
	v_mul_f64_e32 v[6:7], v[28:29], v[6:7]
	s_wait_loadcnt_dscnt 0x303
	v_mul_f64_e32 v[60:61], v[34:35], v[10:11]
	v_mul_f64_e32 v[10:11], v[32:33], v[10:11]
	s_wait_loadcnt_dscnt 0x202
	v_mul_f64_e32 v[62:63], v[46:47], v[14:15]
	v_mul_f64_e32 v[14:15], v[44:45], v[14:15]
	s_wait_loadcnt_dscnt 0x101
	v_mul_f64_e32 v[64:65], v[50:51], v[18:19]
	v_mul_f64_e32 v[18:19], v[48:49], v[18:19]
	s_wait_loadcnt_dscnt 0x0
	v_mul_f64_e32 v[66:67], v[54:55], v[22:23]
	v_mul_f64_e32 v[22:23], v[52:53], v[22:23]
	v_fma_f64 v[24:25], v[24:25], v[0:1], v[56:57]
	v_fma_f64 v[0:1], v[26:27], v[0:1], -v[2:3]
	v_fma_f64 v[2:3], v[28:29], v[4:5], v[58:59]
	v_fma_f64 v[4:5], v[30:31], v[4:5], -v[6:7]
	;; [unrolled: 2-line block ×6, first 2 shown]
	v_add_f64_e32 v[22:23], v[24:25], v[6:7]
	v_add_f64_e32 v[26:27], v[0:1], v[8:9]
	;; [unrolled: 1-line block ×4, first 2 shown]
	v_add_f64_e64 v[10:11], v[2:3], -v[10:11]
	v_add_f64_e64 v[4:5], v[4:5], -v[12:13]
	v_add_f64_e32 v[2:3], v[14:15], v[18:19]
	v_add_f64_e32 v[12:13], v[16:17], v[20:21]
	v_add_f64_e64 v[14:15], v[18:19], -v[14:15]
	v_add_f64_e64 v[16:17], v[20:21], -v[16:17]
	;; [unrolled: 1-line block ×4, first 2 shown]
	v_add_f64_e32 v[0:1], v[28:29], v[22:23]
	v_add_f64_e32 v[18:19], v[30:31], v[26:27]
	v_add_f64_e64 v[20:21], v[22:23], -v[2:3]
	v_add_f64_e64 v[24:25], v[26:27], -v[12:13]
	;; [unrolled: 1-line block ×7, first 2 shown]
	v_add_f64_e32 v[10:11], v[14:15], v[10:11]
	v_add_f64_e32 v[4:5], v[16:17], v[4:5]
	v_add_f64_e64 v[14:15], v[6:7], -v[14:15]
	v_add_f64_e64 v[16:17], v[8:9], -v[16:17]
	;; [unrolled: 1-line block ×4, first 2 shown]
	v_add_f64_e32 v[48:49], v[2:3], v[0:1]
	v_add_f64_e32 v[18:19], v[12:13], v[18:19]
	v_add_f64_e64 v[12:13], v[12:13], -v[30:31]
	ds_load_b128 v[0:3], v42
	v_mul_f64_e32 v[20:21], s[4:5], v[20:21]
	v_mul_f64_e32 v[24:25], s[4:5], v[24:25]
	;; [unrolled: 1-line block ×7, first 2 shown]
	v_add_f64_e32 v[6:7], v[10:11], v[6:7]
	v_add_f64_e32 v[4:5], v[4:5], v[8:9]
	global_wb scope:SCOPE_SE
	s_wait_dscnt 0x0
	s_barrier_signal -1
	s_barrier_wait -1
	global_inv scope:SCOPE_SE
	v_add_f64_e32 v[0:1], v[0:1], v[48:49]
	v_add_f64_e32 v[2:3], v[2:3], v[18:19]
	v_mul_f64_e32 v[30:31], s[16:17], v[12:13]
	v_fma_f64 v[8:9], v[50:51], s[16:17], v[20:21]
	v_fma_f64 v[10:11], v[12:13], s[16:17], v[24:25]
	;; [unrolled: 1-line block ×4, first 2 shown]
	v_fma_f64 v[32:33], v[44:45], s[0:1], -v[32:33]
	v_fma_f64 v[14:15], v[14:15], s[22:23], -v[52:53]
	;; [unrolled: 1-line block ×7, first 2 shown]
	v_fma_f64 v[44:45], v[48:49], s[12:13], v[0:1]
	v_fma_f64 v[18:19], v[18:19], s[12:13], v[2:3]
	v_fma_f64 v[26:27], v[26:27], s[14:15], -v[30:31]
	s_wait_alu 0xfffe
	v_fma_f64 v[28:29], v[6:7], s[24:25], v[12:13]
	v_fma_f64 v[30:31], v[4:5], s[24:25], v[50:51]
	;; [unrolled: 1-line block ×6, first 2 shown]
	v_add_f64_e32 v[50:51], v[8:9], v[44:45]
	v_add_f64_e32 v[52:53], v[10:11], v[18:19]
	v_add_f64_e32 v[20:21], v[20:21], v[44:45]
	v_add_f64_e32 v[24:25], v[24:25], v[18:19]
	v_add_f64_e32 v[16:17], v[22:23], v[44:45]
	v_add_f64_e32 v[18:19], v[26:27], v[18:19]
	v_add_f64_e32 v[4:5], v[30:31], v[50:51]
	v_add_f64_e64 v[6:7], v[52:53], -v[28:29]
	v_add_f64_e32 v[8:9], v[48:49], v[20:21]
	v_add_f64_e64 v[10:11], v[24:25], -v[46:47]
	v_add_f64_e64 v[12:13], v[16:17], -v[34:35]
	v_add_f64_e32 v[14:15], v[32:33], v[18:19]
	v_add_f64_e32 v[16:17], v[34:35], v[16:17]
	v_add_f64_e64 v[18:19], v[18:19], -v[32:33]
	v_add_f64_e64 v[20:21], v[20:21], -v[48:49]
	v_add_f64_e32 v[22:23], v[46:47], v[24:25]
	v_add_f64_e64 v[24:25], v[50:51], -v[30:31]
	v_add_f64_e32 v[26:27], v[28:29], v[52:53]
	v_and_b32_e32 v28, 0xffff, v68
	v_lshlrev_b32_e32 v29, 4, v69
	s_delay_alu instid0(VALU_DEP_2) | instskip(NEXT) | instid1(VALU_DEP_1)
	v_mul_u32_u24_e32 v28, 0xbd0, v28
	v_add3_u32 v28, 0, v28, v29
	ds_store_b128 v28, v[0:3]
	ds_store_b128 v28, v[4:7] offset:432
	ds_store_b128 v28, v[8:11] offset:864
	;; [unrolled: 1-line block ×6, first 2 shown]
	global_wb scope:SCOPE_SE
	s_wait_dscnt 0x0
	s_barrier_signal -1
	s_barrier_wait -1
	global_inv scope:SCOPE_SE
	s_and_saveexec_b32 s26, vcc_lo
	s_cbranch_execz .LBB0_27
; %bb.26:
	v_mul_u32_u24_e32 v0, 6, v41
	s_delay_alu instid0(VALU_DEP_1)
	v_lshlrev_b32_e32 v20, 4, v0
	s_clause 0x5
	global_load_b128 v[0:3], v20, s[8:9] offset:2992
	global_load_b128 v[4:7], v20, s[8:9] offset:3040
	global_load_b128 v[8:11], v20, s[8:9] offset:2976
	global_load_b128 v[12:15], v20, s[8:9] offset:3056
	global_load_b128 v[16:19], v20, s[8:9] offset:3024
	global_load_b128 v[20:23], v20, s[8:9] offset:3008
	ds_load_b128 v[24:27], v43 offset:6048
	ds_load_b128 v[28:31], v42 offset:15120
	;; [unrolled: 1-line block ×4, first 2 shown]
	ds_load_b128 v[47:50], v42
	ds_load_b128 v[51:54], v42 offset:12096
	ds_load_b128 v[55:58], v42 offset:9072
	s_wait_loadcnt_dscnt 0x506
	v_mul_f64_e32 v[59:60], v[24:25], v[2:3]
	s_wait_loadcnt_dscnt 0x405
	v_mul_f64_e32 v[61:62], v[28:29], v[6:7]
	;; [unrolled: 2-line block ×4, first 2 shown]
	v_mul_f64_e32 v[2:3], v[2:3], v[26:27]
	v_mul_f64_e32 v[6:7], v[6:7], v[30:31]
	;; [unrolled: 1-line block ×4, first 2 shown]
	s_wait_loadcnt_dscnt 0x101
	v_mul_f64_e32 v[41:42], v[18:19], v[53:54]
	s_wait_loadcnt_dscnt 0x0
	v_mul_f64_e32 v[67:68], v[22:23], v[57:58]
	v_mul_f64_e32 v[22:23], v[55:56], v[22:23]
	;; [unrolled: 1-line block ×3, first 2 shown]
	v_fma_f64 v[26:27], v[0:1], v[26:27], -v[59:60]
	v_fma_f64 v[30:31], v[4:5], v[30:31], -v[61:62]
	v_fma_f64 v[34:35], v[8:9], v[34:35], -v[63:64]
	v_fma_f64 v[45:46], v[12:13], v[45:46], -v[65:66]
	v_fma_f64 v[0:1], v[0:1], v[24:25], v[2:3]
	v_fma_f64 v[2:3], v[4:5], v[28:29], v[6:7]
	;; [unrolled: 1-line block ×6, first 2 shown]
	v_fma_f64 v[12:13], v[20:21], v[57:58], -v[22:23]
	v_fma_f64 v[14:15], v[16:17], v[53:54], -v[18:19]
	v_add_f64_e32 v[16:17], v[26:27], v[30:31]
	v_add_f64_e32 v[18:19], v[34:35], v[45:46]
	;; [unrolled: 1-line block ×3, first 2 shown]
	v_add_f64_e64 v[0:1], v[0:1], -v[2:3]
	v_add_f64_e32 v[22:23], v[4:5], v[6:7]
	v_add_f64_e64 v[4:5], v[4:5], -v[6:7]
	v_add_f64_e64 v[24:25], v[8:9], -v[10:11]
	v_add_f64_e32 v[8:9], v[8:9], v[10:11]
	v_add_f64_e32 v[2:3], v[14:15], v[12:13]
	v_add_f64_e64 v[10:11], v[14:15], -v[12:13]
	v_add_f64_e64 v[12:13], v[26:27], -v[30:31]
	;; [unrolled: 1-line block ×3, first 2 shown]
	v_add_f64_e32 v[6:7], v[16:17], v[18:19]
	v_add_f64_e32 v[26:27], v[20:21], v[22:23]
	v_add_f64_e64 v[34:35], v[0:1], -v[4:5]
	v_add_f64_e64 v[28:29], v[24:25], -v[0:1]
	;; [unrolled: 1-line block ×7, first 2 shown]
	v_add_f64_e32 v[51:52], v[24:25], v[0:1]
	v_add_f64_e64 v[24:25], v[4:5], -v[24:25]
	v_add_f64_e32 v[12:13], v[10:11], v[12:13]
	v_add_f64_e64 v[10:11], v[14:15], -v[10:11]
	v_add_f64_e64 v[16:17], v[16:17], -v[18:19]
	v_add_f64_e32 v[6:7], v[2:3], v[6:7]
	v_add_f64_e32 v[26:27], v[8:9], v[26:27]
	v_add_f64_e64 v[8:9], v[8:9], -v[20:21]
	v_mul_f64_e32 v[28:29], s[10:11], v[28:29]
	v_mul_f64_e32 v[32:33], s[4:5], v[32:33]
	v_mul_f64_e32 v[30:31], s[4:5], v[30:31]
	v_mul_f64_e32 v[53:54], s[0:1], v[34:35]
	v_mul_f64_e32 v[18:19], s[16:17], v[41:42]
	v_mul_f64_e32 v[43:44], s[10:11], v[43:44]
	v_add_f64_e64 v[20:21], v[20:21], -v[22:23]
	v_add_f64_e32 v[4:5], v[51:52], v[4:5]
	v_add_f64_e32 v[12:13], v[12:13], v[14:15]
	;; [unrolled: 1-line block ×3, first 2 shown]
	v_mul_f64_e32 v[49:50], s[0:1], v[45:46]
	v_add_f64_e32 v[0:1], v[47:48], v[26:27]
	v_mul_f64_e32 v[22:23], s[16:17], v[8:9]
	v_fma_f64 v[14:15], v[24:25], s[20:21], v[28:29]
	v_fma_f64 v[8:9], v[8:9], s[16:17], v[32:33]
	;; [unrolled: 1-line block ×3, first 2 shown]
	v_fma_f64 v[24:25], v[24:25], s[22:23], -v[53:54]
	v_fma_f64 v[28:29], v[34:35], s[0:1], -v[28:29]
	;; [unrolled: 1-line block ×4, first 2 shown]
	v_fma_f64 v[18:19], v[10:11], s[20:21], v[43:44]
	v_fma_f64 v[34:35], v[45:46], s[0:1], -v[43:44]
	v_fma_f64 v[32:33], v[20:21], s[18:19], -v[32:33]
	v_mul_lo_u32 v45, s3, v38
	v_mul_lo_u32 v46, s2, v39
	v_mad_co_u64_u32 v[38:39], null, s2, v38, 0
	s_delay_alu instid0(VALU_DEP_1)
	v_add3_u32 v39, v39, v46, v45
	v_fma_f64 v[6:7], v[6:7], s[12:13], v[2:3]
	v_fma_f64 v[10:11], v[10:11], s[22:23], -v[49:50]
	v_fma_f64 v[26:27], v[26:27], s[12:13], v[0:1]
	v_fma_f64 v[20:21], v[20:21], s[14:15], -v[22:23]
	v_fma_f64 v[43:44], v[4:5], s[24:25], v[14:15]
	v_fma_f64 v[22:23], v[4:5], s[24:25], v[24:25]
	;; [unrolled: 1-line block ×3, first 2 shown]
	v_add_f64_e32 v[24:25], v[41:42], v[6:7]
	v_add_f64_e32 v[28:29], v[30:31], v[6:7]
	v_fma_f64 v[30:31], v[12:13], s[24:25], v[18:19]
	v_fma_f64 v[41:42], v[12:13], s[24:25], v[10:11]
	;; [unrolled: 1-line block ×3, first 2 shown]
	v_add_f64_e32 v[34:35], v[8:9], v[26:27]
	v_add_f64_e32 v[8:9], v[32:33], v[26:27]
	;; [unrolled: 1-line block ×5, first 2 shown]
	v_add_f64_e64 v[26:27], v[24:25], -v[43:44]
	v_add_f64_e32 v[10:11], v[22:23], v[28:29]
	v_add_f64_e64 v[22:23], v[28:29], -v[22:23]
	v_lshlrev_b64_e32 v[28:29], 4, v[38:39]
	v_add_f64_e32 v[24:25], v[30:31], v[34:35]
	v_add_f64_e32 v[20:21], v[41:42], v[8:9]
	v_add_f64_e64 v[14:15], v[16:17], -v[4:5]
	v_add_f64_e32 v[18:19], v[4:5], v[16:17]
	v_add_f64_e64 v[16:17], v[32:33], -v[12:13]
	;; [unrolled: 2-line block ×3, first 2 shown]
	v_mov_b32_e32 v41, 0
	v_add_f64_e64 v[4:5], v[34:35], -v[30:31]
	v_lshlrev_b64_e32 v[30:31], 4, v[36:37]
	v_add_co_u32 v32, vcc_lo, s6, v28
	s_wait_alu 0xfffd
	v_add_co_ci_u32_e32 v33, vcc_lo, s7, v29, vcc_lo
	v_lshlrev_b64_e32 v[28:29], 4, v[40:41]
	s_delay_alu instid0(VALU_DEP_3) | instskip(SKIP_1) | instid1(VALU_DEP_3)
	v_add_co_u32 v30, vcc_lo, v32, v30
	s_wait_alu 0xfffd
	v_add_co_ci_u32_e32 v31, vcc_lo, v33, v31, vcc_lo
	s_delay_alu instid0(VALU_DEP_2) | instskip(SKIP_1) | instid1(VALU_DEP_2)
	v_add_co_u32 v28, vcc_lo, v30, v28
	s_wait_alu 0xfffd
	v_add_co_ci_u32_e32 v29, vcc_lo, v31, v29, vcc_lo
	s_clause 0x6
	global_store_b128 v[28:29], v[0:3], off
	global_store_b128 v[28:29], v[24:27], off offset:3024
	global_store_b128 v[28:29], v[20:23], off offset:6048
	;; [unrolled: 1-line block ×6, first 2 shown]
.LBB0_27:
	s_nop 0
	s_sendmsg sendmsg(MSG_DEALLOC_VGPRS)
	s_endpgm
	.section	.rodata,"a",@progbits
	.p2align	6, 0x0
	.amdhsa_kernel fft_rtc_back_len1323_factors_3_3_3_7_7_wgs_189_tpt_189_dp_op_CI_CI_unitstride_sbrr_dirReg
		.amdhsa_group_segment_fixed_size 0
		.amdhsa_private_segment_fixed_size 0
		.amdhsa_kernarg_size 104
		.amdhsa_user_sgpr_count 2
		.amdhsa_user_sgpr_dispatch_ptr 0
		.amdhsa_user_sgpr_queue_ptr 0
		.amdhsa_user_sgpr_kernarg_segment_ptr 1
		.amdhsa_user_sgpr_dispatch_id 0
		.amdhsa_user_sgpr_private_segment_size 0
		.amdhsa_wavefront_size32 1
		.amdhsa_uses_dynamic_stack 0
		.amdhsa_enable_private_segment 0
		.amdhsa_system_sgpr_workgroup_id_x 1
		.amdhsa_system_sgpr_workgroup_id_y 0
		.amdhsa_system_sgpr_workgroup_id_z 0
		.amdhsa_system_sgpr_workgroup_info 0
		.amdhsa_system_vgpr_workitem_id 0
		.amdhsa_next_free_vgpr 90
		.amdhsa_next_free_sgpr 39
		.amdhsa_reserve_vcc 1
		.amdhsa_float_round_mode_32 0
		.amdhsa_float_round_mode_16_64 0
		.amdhsa_float_denorm_mode_32 3
		.amdhsa_float_denorm_mode_16_64 3
		.amdhsa_fp16_overflow 0
		.amdhsa_workgroup_processor_mode 1
		.amdhsa_memory_ordered 1
		.amdhsa_forward_progress 0
		.amdhsa_round_robin_scheduling 0
		.amdhsa_exception_fp_ieee_invalid_op 0
		.amdhsa_exception_fp_denorm_src 0
		.amdhsa_exception_fp_ieee_div_zero 0
		.amdhsa_exception_fp_ieee_overflow 0
		.amdhsa_exception_fp_ieee_underflow 0
		.amdhsa_exception_fp_ieee_inexact 0
		.amdhsa_exception_int_div_zero 0
	.end_amdhsa_kernel
	.text
.Lfunc_end0:
	.size	fft_rtc_back_len1323_factors_3_3_3_7_7_wgs_189_tpt_189_dp_op_CI_CI_unitstride_sbrr_dirReg, .Lfunc_end0-fft_rtc_back_len1323_factors_3_3_3_7_7_wgs_189_tpt_189_dp_op_CI_CI_unitstride_sbrr_dirReg
                                        ; -- End function
	.section	.AMDGPU.csdata,"",@progbits
; Kernel info:
; codeLenInByte = 6372
; NumSgprs: 41
; NumVgprs: 90
; ScratchSize: 0
; MemoryBound: 1
; FloatMode: 240
; IeeeMode: 1
; LDSByteSize: 0 bytes/workgroup (compile time only)
; SGPRBlocks: 5
; VGPRBlocks: 11
; NumSGPRsForWavesPerEU: 41
; NumVGPRsForWavesPerEU: 90
; Occupancy: 15
; WaveLimiterHint : 1
; COMPUTE_PGM_RSRC2:SCRATCH_EN: 0
; COMPUTE_PGM_RSRC2:USER_SGPR: 2
; COMPUTE_PGM_RSRC2:TRAP_HANDLER: 0
; COMPUTE_PGM_RSRC2:TGID_X_EN: 1
; COMPUTE_PGM_RSRC2:TGID_Y_EN: 0
; COMPUTE_PGM_RSRC2:TGID_Z_EN: 0
; COMPUTE_PGM_RSRC2:TIDIG_COMP_CNT: 0
	.text
	.p2alignl 7, 3214868480
	.fill 96, 4, 3214868480
	.type	__hip_cuid_98af4342012bdc9d,@object ; @__hip_cuid_98af4342012bdc9d
	.section	.bss,"aw",@nobits
	.globl	__hip_cuid_98af4342012bdc9d
__hip_cuid_98af4342012bdc9d:
	.byte	0                               ; 0x0
	.size	__hip_cuid_98af4342012bdc9d, 1

	.ident	"AMD clang version 19.0.0git (https://github.com/RadeonOpenCompute/llvm-project roc-6.4.0 25133 c7fe45cf4b819c5991fe208aaa96edf142730f1d)"
	.section	".note.GNU-stack","",@progbits
	.addrsig
	.addrsig_sym __hip_cuid_98af4342012bdc9d
	.amdgpu_metadata
---
amdhsa.kernels:
  - .args:
      - .actual_access:  read_only
        .address_space:  global
        .offset:         0
        .size:           8
        .value_kind:     global_buffer
      - .offset:         8
        .size:           8
        .value_kind:     by_value
      - .actual_access:  read_only
        .address_space:  global
        .offset:         16
        .size:           8
        .value_kind:     global_buffer
      - .actual_access:  read_only
        .address_space:  global
        .offset:         24
        .size:           8
        .value_kind:     global_buffer
      - .actual_access:  read_only
        .address_space:  global
        .offset:         32
        .size:           8
        .value_kind:     global_buffer
      - .offset:         40
        .size:           8
        .value_kind:     by_value
      - .actual_access:  read_only
        .address_space:  global
        .offset:         48
        .size:           8
        .value_kind:     global_buffer
      - .actual_access:  read_only
        .address_space:  global
        .offset:         56
        .size:           8
        .value_kind:     global_buffer
      - .offset:         64
        .size:           4
        .value_kind:     by_value
      - .actual_access:  read_only
        .address_space:  global
        .offset:         72
        .size:           8
        .value_kind:     global_buffer
      - .actual_access:  read_only
        .address_space:  global
        .offset:         80
        .size:           8
        .value_kind:     global_buffer
      - .actual_access:  read_only
        .address_space:  global
        .offset:         88
        .size:           8
        .value_kind:     global_buffer
      - .actual_access:  write_only
        .address_space:  global
        .offset:         96
        .size:           8
        .value_kind:     global_buffer
    .group_segment_fixed_size: 0
    .kernarg_segment_align: 8
    .kernarg_segment_size: 104
    .language:       OpenCL C
    .language_version:
      - 2
      - 0
    .max_flat_workgroup_size: 189
    .name:           fft_rtc_back_len1323_factors_3_3_3_7_7_wgs_189_tpt_189_dp_op_CI_CI_unitstride_sbrr_dirReg
    .private_segment_fixed_size: 0
    .sgpr_count:     41
    .sgpr_spill_count: 0
    .symbol:         fft_rtc_back_len1323_factors_3_3_3_7_7_wgs_189_tpt_189_dp_op_CI_CI_unitstride_sbrr_dirReg.kd
    .uniform_work_group_size: 1
    .uses_dynamic_stack: false
    .vgpr_count:     90
    .vgpr_spill_count: 0
    .wavefront_size: 32
    .workgroup_processor_mode: 1
amdhsa.target:   amdgcn-amd-amdhsa--gfx1201
amdhsa.version:
  - 1
  - 2
...

	.end_amdgpu_metadata
